;; amdgpu-corpus repo=ROCm/rocFFT kind=compiled arch=gfx1100 opt=O3
	.text
	.amdgcn_target "amdgcn-amd-amdhsa--gfx1100"
	.amdhsa_code_object_version 6
	.protected	fft_rtc_fwd_len1485_factors_3_5_11_3_3_wgs_165_tpt_165_half_ip_CI_unitstride_sbrr_dirReg ; -- Begin function fft_rtc_fwd_len1485_factors_3_5_11_3_3_wgs_165_tpt_165_half_ip_CI_unitstride_sbrr_dirReg
	.globl	fft_rtc_fwd_len1485_factors_3_5_11_3_3_wgs_165_tpt_165_half_ip_CI_unitstride_sbrr_dirReg
	.p2align	8
	.type	fft_rtc_fwd_len1485_factors_3_5_11_3_3_wgs_165_tpt_165_half_ip_CI_unitstride_sbrr_dirReg,@function
fft_rtc_fwd_len1485_factors_3_5_11_3_3_wgs_165_tpt_165_half_ip_CI_unitstride_sbrr_dirReg: ; @fft_rtc_fwd_len1485_factors_3_5_11_3_3_wgs_165_tpt_165_half_ip_CI_unitstride_sbrr_dirReg
; %bb.0:
	s_clause 0x2
	s_load_b128 s[4:7], s[0:1], 0x0
	s_load_b64 s[8:9], s[0:1], 0x50
	s_load_b64 s[10:11], s[0:1], 0x18
	v_mul_u32_u24_e32 v1, 0x18e, v0
	v_mov_b32_e32 v3, 0
	v_mov_b32_e32 v4, 0
	s_delay_alu instid0(VALU_DEP_3) | instskip(SKIP_1) | instid1(VALU_DEP_1)
	v_lshrrev_b32_e32 v2, 16, v1
	v_mov_b32_e32 v1, 0
	v_dual_mov_b32 v6, v1 :: v_dual_add_nc_u32 v5, s15, v2
	s_waitcnt lgkmcnt(0)
	v_cmp_lt_u64_e64 s2, s[6:7], 2
	s_delay_alu instid0(VALU_DEP_1)
	s_and_b32 vcc_lo, exec_lo, s2
	s_cbranch_vccnz .LBB0_8
; %bb.1:
	s_load_b64 s[2:3], s[0:1], 0x10
	v_mov_b32_e32 v3, 0
	s_add_u32 s12, s10, 8
	v_mov_b32_e32 v4, 0
	s_addc_u32 s13, s11, 0
	s_mov_b64 s[16:17], 1
	s_waitcnt lgkmcnt(0)
	s_add_u32 s14, s2, 8
	s_addc_u32 s15, s3, 0
.LBB0_2:                                ; =>This Inner Loop Header: Depth=1
	s_load_b64 s[18:19], s[14:15], 0x0
                                        ; implicit-def: $vgpr7_vgpr8
	s_mov_b32 s2, exec_lo
	s_waitcnt lgkmcnt(0)
	v_or_b32_e32 v2, s19, v6
	s_delay_alu instid0(VALU_DEP_1)
	v_cmpx_ne_u64_e32 0, v[1:2]
	s_xor_b32 s3, exec_lo, s2
	s_cbranch_execz .LBB0_4
; %bb.3:                                ;   in Loop: Header=BB0_2 Depth=1
	v_cvt_f32_u32_e32 v2, s18
	v_cvt_f32_u32_e32 v7, s19
	s_sub_u32 s2, 0, s18
	s_subb_u32 s20, 0, s19
	s_delay_alu instid0(VALU_DEP_1) | instskip(NEXT) | instid1(VALU_DEP_1)
	v_fmac_f32_e32 v2, 0x4f800000, v7
	v_rcp_f32_e32 v2, v2
	s_waitcnt_depctr 0xfff
	v_mul_f32_e32 v2, 0x5f7ffffc, v2
	s_delay_alu instid0(VALU_DEP_1) | instskip(NEXT) | instid1(VALU_DEP_1)
	v_mul_f32_e32 v7, 0x2f800000, v2
	v_trunc_f32_e32 v7, v7
	s_delay_alu instid0(VALU_DEP_1) | instskip(SKIP_1) | instid1(VALU_DEP_2)
	v_fmac_f32_e32 v2, 0xcf800000, v7
	v_cvt_u32_f32_e32 v7, v7
	v_cvt_u32_f32_e32 v2, v2
	s_delay_alu instid0(VALU_DEP_2) | instskip(NEXT) | instid1(VALU_DEP_2)
	v_mul_lo_u32 v8, s2, v7
	v_mul_hi_u32 v9, s2, v2
	v_mul_lo_u32 v10, s20, v2
	s_delay_alu instid0(VALU_DEP_2) | instskip(SKIP_1) | instid1(VALU_DEP_2)
	v_add_nc_u32_e32 v8, v9, v8
	v_mul_lo_u32 v9, s2, v2
	v_add_nc_u32_e32 v8, v8, v10
	s_delay_alu instid0(VALU_DEP_2) | instskip(NEXT) | instid1(VALU_DEP_2)
	v_mul_hi_u32 v10, v2, v9
	v_mul_lo_u32 v11, v2, v8
	v_mul_hi_u32 v12, v2, v8
	v_mul_hi_u32 v13, v7, v9
	v_mul_lo_u32 v9, v7, v9
	v_mul_hi_u32 v14, v7, v8
	v_mul_lo_u32 v8, v7, v8
	v_add_co_u32 v10, vcc_lo, v10, v11
	v_add_co_ci_u32_e32 v11, vcc_lo, 0, v12, vcc_lo
	s_delay_alu instid0(VALU_DEP_2) | instskip(NEXT) | instid1(VALU_DEP_2)
	v_add_co_u32 v9, vcc_lo, v10, v9
	v_add_co_ci_u32_e32 v9, vcc_lo, v11, v13, vcc_lo
	v_add_co_ci_u32_e32 v10, vcc_lo, 0, v14, vcc_lo
	s_delay_alu instid0(VALU_DEP_2) | instskip(NEXT) | instid1(VALU_DEP_2)
	v_add_co_u32 v8, vcc_lo, v9, v8
	v_add_co_ci_u32_e32 v9, vcc_lo, 0, v10, vcc_lo
	s_delay_alu instid0(VALU_DEP_2) | instskip(NEXT) | instid1(VALU_DEP_2)
	v_add_co_u32 v2, vcc_lo, v2, v8
	v_add_co_ci_u32_e32 v7, vcc_lo, v7, v9, vcc_lo
	s_delay_alu instid0(VALU_DEP_2) | instskip(SKIP_1) | instid1(VALU_DEP_3)
	v_mul_hi_u32 v8, s2, v2
	v_mul_lo_u32 v10, s20, v2
	v_mul_lo_u32 v9, s2, v7
	s_delay_alu instid0(VALU_DEP_1) | instskip(SKIP_1) | instid1(VALU_DEP_2)
	v_add_nc_u32_e32 v8, v8, v9
	v_mul_lo_u32 v9, s2, v2
	v_add_nc_u32_e32 v8, v8, v10
	s_delay_alu instid0(VALU_DEP_2) | instskip(NEXT) | instid1(VALU_DEP_2)
	v_mul_hi_u32 v10, v2, v9
	v_mul_lo_u32 v11, v2, v8
	v_mul_hi_u32 v12, v2, v8
	v_mul_hi_u32 v13, v7, v9
	v_mul_lo_u32 v9, v7, v9
	v_mul_hi_u32 v14, v7, v8
	v_mul_lo_u32 v8, v7, v8
	v_add_co_u32 v10, vcc_lo, v10, v11
	v_add_co_ci_u32_e32 v11, vcc_lo, 0, v12, vcc_lo
	s_delay_alu instid0(VALU_DEP_2) | instskip(NEXT) | instid1(VALU_DEP_2)
	v_add_co_u32 v9, vcc_lo, v10, v9
	v_add_co_ci_u32_e32 v9, vcc_lo, v11, v13, vcc_lo
	v_add_co_ci_u32_e32 v10, vcc_lo, 0, v14, vcc_lo
	s_delay_alu instid0(VALU_DEP_2) | instskip(NEXT) | instid1(VALU_DEP_2)
	v_add_co_u32 v8, vcc_lo, v9, v8
	v_add_co_ci_u32_e32 v9, vcc_lo, 0, v10, vcc_lo
	s_delay_alu instid0(VALU_DEP_2) | instskip(NEXT) | instid1(VALU_DEP_2)
	v_add_co_u32 v2, vcc_lo, v2, v8
	v_add_co_ci_u32_e32 v13, vcc_lo, v7, v9, vcc_lo
	s_delay_alu instid0(VALU_DEP_2) | instskip(SKIP_1) | instid1(VALU_DEP_3)
	v_mul_hi_u32 v14, v5, v2
	v_mad_u64_u32 v[9:10], null, v6, v2, 0
	v_mad_u64_u32 v[7:8], null, v5, v13, 0
	;; [unrolled: 1-line block ×3, first 2 shown]
	s_delay_alu instid0(VALU_DEP_2) | instskip(NEXT) | instid1(VALU_DEP_3)
	v_add_co_u32 v2, vcc_lo, v14, v7
	v_add_co_ci_u32_e32 v7, vcc_lo, 0, v8, vcc_lo
	s_delay_alu instid0(VALU_DEP_2) | instskip(NEXT) | instid1(VALU_DEP_2)
	v_add_co_u32 v2, vcc_lo, v2, v9
	v_add_co_ci_u32_e32 v2, vcc_lo, v7, v10, vcc_lo
	v_add_co_ci_u32_e32 v7, vcc_lo, 0, v12, vcc_lo
	s_delay_alu instid0(VALU_DEP_2) | instskip(NEXT) | instid1(VALU_DEP_2)
	v_add_co_u32 v2, vcc_lo, v2, v11
	v_add_co_ci_u32_e32 v9, vcc_lo, 0, v7, vcc_lo
	s_delay_alu instid0(VALU_DEP_2) | instskip(SKIP_1) | instid1(VALU_DEP_3)
	v_mul_lo_u32 v10, s19, v2
	v_mad_u64_u32 v[7:8], null, s18, v2, 0
	v_mul_lo_u32 v11, s18, v9
	s_delay_alu instid0(VALU_DEP_2) | instskip(NEXT) | instid1(VALU_DEP_2)
	v_sub_co_u32 v7, vcc_lo, v5, v7
	v_add3_u32 v8, v8, v11, v10
	s_delay_alu instid0(VALU_DEP_1) | instskip(NEXT) | instid1(VALU_DEP_1)
	v_sub_nc_u32_e32 v10, v6, v8
	v_subrev_co_ci_u32_e64 v10, s2, s19, v10, vcc_lo
	v_add_co_u32 v11, s2, v2, 2
	s_delay_alu instid0(VALU_DEP_1) | instskip(SKIP_3) | instid1(VALU_DEP_3)
	v_add_co_ci_u32_e64 v12, s2, 0, v9, s2
	v_sub_co_u32 v13, s2, v7, s18
	v_sub_co_ci_u32_e32 v8, vcc_lo, v6, v8, vcc_lo
	v_subrev_co_ci_u32_e64 v10, s2, 0, v10, s2
	v_cmp_le_u32_e32 vcc_lo, s18, v13
	s_delay_alu instid0(VALU_DEP_3) | instskip(SKIP_1) | instid1(VALU_DEP_4)
	v_cmp_eq_u32_e64 s2, s19, v8
	v_cndmask_b32_e64 v13, 0, -1, vcc_lo
	v_cmp_le_u32_e32 vcc_lo, s19, v10
	v_cndmask_b32_e64 v14, 0, -1, vcc_lo
	v_cmp_le_u32_e32 vcc_lo, s18, v7
	;; [unrolled: 2-line block ×3, first 2 shown]
	v_cndmask_b32_e64 v15, 0, -1, vcc_lo
	v_cmp_eq_u32_e32 vcc_lo, s19, v10
	s_delay_alu instid0(VALU_DEP_2) | instskip(SKIP_3) | instid1(VALU_DEP_3)
	v_cndmask_b32_e64 v7, v15, v7, s2
	v_cndmask_b32_e32 v10, v14, v13, vcc_lo
	v_add_co_u32 v13, vcc_lo, v2, 1
	v_add_co_ci_u32_e32 v14, vcc_lo, 0, v9, vcc_lo
	v_cmp_ne_u32_e32 vcc_lo, 0, v10
	s_delay_alu instid0(VALU_DEP_2) | instskip(NEXT) | instid1(VALU_DEP_4)
	v_cndmask_b32_e32 v8, v14, v12, vcc_lo
	v_cndmask_b32_e32 v10, v13, v11, vcc_lo
	v_cmp_ne_u32_e32 vcc_lo, 0, v7
	s_delay_alu instid0(VALU_DEP_2)
	v_dual_cndmask_b32 v7, v2, v10 :: v_dual_cndmask_b32 v8, v9, v8
.LBB0_4:                                ;   in Loop: Header=BB0_2 Depth=1
	s_and_not1_saveexec_b32 s2, s3
	s_cbranch_execz .LBB0_6
; %bb.5:                                ;   in Loop: Header=BB0_2 Depth=1
	v_cvt_f32_u32_e32 v2, s18
	s_sub_i32 s3, 0, s18
	s_delay_alu instid0(VALU_DEP_1) | instskip(SKIP_2) | instid1(VALU_DEP_1)
	v_rcp_iflag_f32_e32 v2, v2
	s_waitcnt_depctr 0xfff
	v_mul_f32_e32 v2, 0x4f7ffffe, v2
	v_cvt_u32_f32_e32 v2, v2
	s_delay_alu instid0(VALU_DEP_1) | instskip(NEXT) | instid1(VALU_DEP_1)
	v_mul_lo_u32 v7, s3, v2
	v_mul_hi_u32 v7, v2, v7
	s_delay_alu instid0(VALU_DEP_1) | instskip(NEXT) | instid1(VALU_DEP_1)
	v_add_nc_u32_e32 v2, v2, v7
	v_mul_hi_u32 v2, v5, v2
	s_delay_alu instid0(VALU_DEP_1) | instskip(SKIP_1) | instid1(VALU_DEP_2)
	v_mul_lo_u32 v7, v2, s18
	v_add_nc_u32_e32 v8, 1, v2
	v_sub_nc_u32_e32 v7, v5, v7
	s_delay_alu instid0(VALU_DEP_1) | instskip(SKIP_1) | instid1(VALU_DEP_2)
	v_subrev_nc_u32_e32 v9, s18, v7
	v_cmp_le_u32_e32 vcc_lo, s18, v7
	v_dual_cndmask_b32 v7, v7, v9 :: v_dual_cndmask_b32 v2, v2, v8
	s_delay_alu instid0(VALU_DEP_1) | instskip(NEXT) | instid1(VALU_DEP_2)
	v_cmp_le_u32_e32 vcc_lo, s18, v7
	v_add_nc_u32_e32 v8, 1, v2
	s_delay_alu instid0(VALU_DEP_1)
	v_dual_cndmask_b32 v7, v2, v8 :: v_dual_mov_b32 v8, v1
.LBB0_6:                                ;   in Loop: Header=BB0_2 Depth=1
	s_or_b32 exec_lo, exec_lo, s2
	s_load_b64 s[2:3], s[12:13], 0x0
	s_delay_alu instid0(VALU_DEP_1) | instskip(NEXT) | instid1(VALU_DEP_2)
	v_mul_lo_u32 v2, v8, s18
	v_mul_lo_u32 v11, v7, s19
	v_mad_u64_u32 v[9:10], null, v7, s18, 0
	s_add_u32 s16, s16, 1
	s_addc_u32 s17, s17, 0
	s_add_u32 s12, s12, 8
	s_addc_u32 s13, s13, 0
	;; [unrolled: 2-line block ×3, first 2 shown]
	s_delay_alu instid0(VALU_DEP_1) | instskip(SKIP_1) | instid1(VALU_DEP_2)
	v_add3_u32 v2, v10, v11, v2
	v_sub_co_u32 v9, vcc_lo, v5, v9
	v_sub_co_ci_u32_e32 v2, vcc_lo, v6, v2, vcc_lo
	s_waitcnt lgkmcnt(0)
	s_delay_alu instid0(VALU_DEP_2) | instskip(NEXT) | instid1(VALU_DEP_2)
	v_mul_lo_u32 v10, s3, v9
	v_mul_lo_u32 v2, s2, v2
	v_mad_u64_u32 v[5:6], null, s2, v9, v[3:4]
	v_cmp_ge_u64_e64 s2, s[16:17], s[6:7]
	s_delay_alu instid0(VALU_DEP_1) | instskip(NEXT) | instid1(VALU_DEP_2)
	s_and_b32 vcc_lo, exec_lo, s2
	v_add3_u32 v4, v10, v6, v2
	s_delay_alu instid0(VALU_DEP_3)
	v_mov_b32_e32 v3, v5
	s_cbranch_vccnz .LBB0_9
; %bb.7:                                ;   in Loop: Header=BB0_2 Depth=1
	v_dual_mov_b32 v5, v7 :: v_dual_mov_b32 v6, v8
	s_branch .LBB0_2
.LBB0_8:
	v_dual_mov_b32 v8, v6 :: v_dual_mov_b32 v7, v5
.LBB0_9:
	s_lshl_b64 s[2:3], s[6:7], 3
                                        ; implicit-def: $vgpr10
                                        ; implicit-def: $vgpr11
                                        ; implicit-def: $vgpr9
	s_delay_alu instid0(SALU_CYCLE_1)
	s_add_u32 s2, s10, s2
	s_addc_u32 s3, s11, s3
	s_load_b64 s[2:3], s[2:3], 0x0
	s_load_b64 s[0:1], s[0:1], 0x20
	s_waitcnt lgkmcnt(0)
	v_mul_lo_u32 v5, s2, v8
	v_mul_lo_u32 v6, s3, v7
	v_mad_u64_u32 v[1:2], null, s2, v7, v[3:4]
	v_mul_hi_u32 v3, 0x18d3019, v0
	v_cmp_gt_u64_e32 vcc_lo, s[0:1], v[7:8]
                                        ; implicit-def: $vgpr4
                                        ; implicit-def: $vgpr7
                                        ; implicit-def: $vgpr8
	s_delay_alu instid0(VALU_DEP_3) | instskip(NEXT) | instid1(VALU_DEP_3)
	v_add3_u32 v2, v6, v2, v5
                                        ; implicit-def: $vgpr5
                                        ; implicit-def: $vgpr6
	v_mul_u32_u24_e32 v3, 0xa5, v3
	s_delay_alu instid0(VALU_DEP_2) | instskip(NEXT) | instid1(VALU_DEP_2)
	v_lshlrev_b64 v[1:2], 2, v[1:2]
	v_sub_nc_u32_e32 v3, v0, v3
                                        ; implicit-def: $vgpr0
	s_and_saveexec_b32 s1, vcc_lo
; %bb.10:
	v_mov_b32_e32 v4, 0
	s_delay_alu instid0(VALU_DEP_3) | instskip(NEXT) | instid1(VALU_DEP_1)
	v_add_co_u32 v0, s0, s8, v1
	v_add_co_ci_u32_e64 v7, s0, s9, v2, s0
	s_delay_alu instid0(VALU_DEP_3) | instskip(NEXT) | instid1(VALU_DEP_1)
	v_lshlrev_b64 v[4:5], 2, v[3:4]
	v_add_co_u32 v6, s0, v0, v4
	s_delay_alu instid0(VALU_DEP_1) | instskip(NEXT) | instid1(VALU_DEP_2)
	v_add_co_ci_u32_e64 v7, s0, v7, v5, s0
	v_add_co_u32 v12, s0, 0x1000, v6
	s_delay_alu instid0(VALU_DEP_1)
	v_add_co_ci_u32_e64 v13, s0, 0, v7, s0
	s_clause 0x8
	global_load_b32 v10, v[6:7], off
	global_load_b32 v4, v[6:7], off offset:660
	global_load_b32 v9, v[6:7], off offset:2640
	;; [unrolled: 1-line block ×8, first 2 shown]
; %bb.11:
	s_or_b32 exec_lo, exec_lo, s1
	s_waitcnt vmcnt(2)
	v_pk_add_f16 v12, v11, v5
	v_pk_add_f16 v13, v11, v5 neg_lo:[0,1] neg_hi:[0,1]
	v_pk_add_f16 v11, v10, v11
	v_pk_add_f16 v14, v4, v9
	;; [unrolled: 1-line block ×3, first 2 shown]
	v_pk_fma_f16 v10, v12, 0.5, v10 op_sel_hi:[1,0,1] neg_lo:[1,0,0] neg_hi:[1,0,0]
	v_pk_mul_f16 v12, 0x3aee, v13 op_sel_hi:[0,1]
	v_pk_add_f16 v9, v9, v0 neg_lo:[0,1] neg_hi:[0,1]
	s_waitcnt vmcnt(1)
	v_pk_add_f16 v13, v8, v6
	v_pk_fma_f16 v4, v16, 0.5, v4 op_sel_hi:[1,0,1] neg_lo:[1,0,0] neg_hi:[1,0,0]
	v_pk_add_f16 v11, v11, v5
	v_pk_add_f16 v17, v10, v12 op_sel:[0,1] op_sel_hi:[1,0]
	v_pk_add_f16 v10, v10, v12 op_sel:[0,1] op_sel_hi:[1,0] neg_lo:[0,1] neg_hi:[0,1]
	s_waitcnt vmcnt(0)
	v_pk_add_f16 v12, v7, v8
	v_pk_add_f16 v8, v8, v7 neg_lo:[0,1] neg_hi:[0,1]
	v_pk_mul_f16 v9, 0x3aee, v9 op_sel_hi:[0,1]
	v_mad_u32_u24 v15, v3, 12, 0
	v_pk_add_f16 v0, v14, v0
	v_pk_fma_f16 v5, v12, 0.5, v6 op_sel_hi:[1,0,1] neg_lo:[1,0,0] neg_hi:[1,0,0]
	v_pk_mul_f16 v8, 0x3aee, v8 op_sel_hi:[0,1]
	v_pk_add_f16 v6, v4, v9 op_sel:[0,1] op_sel_hi:[1,0] neg_lo:[0,1] neg_hi:[0,1]
	v_pk_add_f16 v16, v4, v9 op_sel:[0,1] op_sel_hi:[1,0]
	v_bfi_b32 v12, 0xffff, v17, v10
	v_add_nc_u32_e32 v9, 0x7bc, v15
	v_pk_add_f16 v4, v5, v8 op_sel:[0,1] op_sel_hi:[1,0] neg_lo:[0,1] neg_hi:[0,1]
	v_pk_add_f16 v5, v5, v8 op_sel:[0,1] op_sel_hi:[1,0]
	v_bfi_b32 v8, 0xffff, v16, v6
	v_bfi_b32 v10, 0xffff, v10, v17
	v_lshlrev_b32_e32 v17, 3, v3
	v_add_nc_u32_e32 v14, 0xf78, v15
	v_pk_add_f16 v7, v7, v13
	v_bfi_b32 v13, 0xffff, v5, v4
	ds_store_2addr_b32 v9, v0, v8 offset1:1
	ds_store_2addr_b32 v14, v7, v13 offset1:1
	v_sub_nc_u32_e32 v8, v15, v17
	v_bfi_b32 v18, 0xffff, v6, v16
	v_bfi_b32 v0, 0xffff, v4, v5
	ds_store_2addr_b32 v15, v11, v12 offset1:1
	ds_store_b32 v15, v10 offset:8
	ds_store_b32 v15, v18 offset:1988
	;; [unrolled: 1-line block ×3, first 2 shown]
	s_waitcnt lgkmcnt(0)
	s_barrier
	buffer_gl0_inv
	ds_load_b32 v9, v8
	ds_load_b32 v12, v8 offset:1188
	ds_load_b32 v11, v8 offset:2376
	ds_load_b32 v10, v8 offset:3564
	ds_load_b32 v8, v8 offset:4752
	v_sub_nc_u32_e32 v0, 0, v17
	v_lshrrev_b32_e32 v16, 16, v16
	v_lshrrev_b32_e32 v21, 16, v5
	;; [unrolled: 1-line block ×3, first 2 shown]
	v_cmp_gt_u32_e64 s0, 0x84, v3
	v_lshrrev_b32_e32 v22, 16, v4
	v_add_nc_u32_e32 v0, v15, v0
                                        ; implicit-def: $vgpr15
                                        ; implicit-def: $vgpr13
	s_delay_alu instid0(VALU_DEP_3)
	s_and_saveexec_b32 s1, s0
	s_cbranch_execz .LBB0_13
; %bb.12:
	ds_load_b32 v6, v0 offset:660
	ds_load_b32 v13, v0 offset:5412
	;; [unrolled: 1-line block ×5, first 2 shown]
	s_waitcnt lgkmcnt(4)
	v_lshrrev_b32_e32 v16, 16, v6
	s_waitcnt lgkmcnt(3)
	v_lshrrev_b32_e32 v15, 16, v13
	;; [unrolled: 2-line block ×5, first 2 shown]
.LBB0_13:
	s_or_b32 exec_lo, exec_lo, s1
	v_and_b32_e32 v19, 0xff, v3
	v_add_nc_u32_e32 v14, 0xa5, v3
	s_waitcnt lgkmcnt(3)
	v_lshrrev_b32_e32 v34, 16, v12
	s_waitcnt lgkmcnt(2)
	v_lshrrev_b32_e32 v35, 16, v11
	;; [unrolled: 2-line block ×3, first 2 shown]
	v_mul_lo_u16 v17, 0xab, v19
	v_and_b32_e32 v20, 0xffff, v14
	s_waitcnt lgkmcnt(0)
	v_lshrrev_b32_e32 v37, 16, v8
	s_delay_alu instid0(VALU_DEP_3) | instskip(NEXT) | instid1(VALU_DEP_3)
	v_lshrrev_b16 v17, 9, v17
	v_mul_u32_u24_e32 v20, 0xaaab, v20
	s_delay_alu instid0(VALU_DEP_2) | instskip(NEXT) | instid1(VALU_DEP_2)
	v_mul_lo_u16 v23, v17, 3
	v_lshrrev_b32_e32 v20, 17, v20
	v_and_b32_e32 v33, 0xffff, v17
	v_lshrrev_b32_e32 v17, 16, v9
	s_delay_alu instid0(VALU_DEP_4) | instskip(NEXT) | instid1(VALU_DEP_4)
	v_sub_nc_u16 v23, v3, v23
	v_mul_lo_u16 v24, v20, 3
	s_delay_alu instid0(VALU_DEP_4) | instskip(NEXT) | instid1(VALU_DEP_3)
	v_mul_u32_u24_e32 v33, 60, v33
	v_and_b32_e32 v23, 0xff, v23
	s_delay_alu instid0(VALU_DEP_3) | instskip(NEXT) | instid1(VALU_DEP_2)
	v_sub_nc_u16 v24, v14, v24
	v_lshlrev_b32_e32 v25, 4, v23
	s_delay_alu instid0(VALU_DEP_2)
	v_and_b32_e32 v24, 0xffff, v24
	v_lshlrev_b32_e32 v23, 2, v23
	global_load_b128 v[25:28], v25, s[4:5]
	v_lshlrev_b32_e32 v29, 4, v24
	v_add3_u32 v33, 0, v33, v23
	global_load_b128 v[29:32], v29, s[4:5]
	s_waitcnt vmcnt(0)
	s_barrier
	buffer_gl0_inv
	v_lshrrev_b32_e32 v23, 16, v25
	v_lshrrev_b32_e32 v38, 16, v26
	;; [unrolled: 1-line block ×4, first 2 shown]
	s_delay_alu instid0(VALU_DEP_4)
	v_mul_f16_e32 v41, v23, v34
	v_mul_f16_e32 v23, v23, v12
	v_mul_f16_e32 v42, v38, v35
	v_mul_f16_e32 v38, v38, v11
	v_mul_f16_e32 v43, v39, v36
	v_mul_f16_e32 v39, v39, v10
	v_mul_f16_e32 v44, v40, v37
	v_mul_f16_e32 v40, v40, v8
	v_lshrrev_b32_e32 v45, 16, v29
	v_lshrrev_b32_e32 v46, 16, v30
	v_lshrrev_b32_e32 v47, 16, v31
	v_lshrrev_b32_e32 v48, 16, v32
	v_fma_f16 v12, v25, v12, -v41
	v_fmac_f16_e32 v23, v25, v34
	v_fma_f16 v11, v26, v11, -v42
	v_fmac_f16_e32 v38, v26, v35
	;; [unrolled: 2-line block ×4, first 2 shown]
	v_mul_f16_e32 v8, v18, v45
	v_mul_f16_e32 v27, v7, v45
	;; [unrolled: 1-line block ×8, first 2 shown]
	v_fma_f16 v7, v7, v29, -v8
	v_fmac_f16_e32 v27, v18, v29
	v_fma_f16 v29, v5, v30, -v10
	v_fmac_f16_e32 v28, v22, v30
	;; [unrolled: 2-line block ×4, first 2 shown]
	v_add_f16_e32 v4, v9, v12
	v_add_f16_e32 v5, v11, v25
	v_sub_f16_e32 v13, v23, v40
	v_sub_f16_e32 v8, v12, v11
	;; [unrolled: 1-line block ×3, first 2 shown]
	v_add_f16_e32 v21, v12, v26
	v_add_f16_e32 v34, v17, v23
	v_add_f16_e32 v36, v38, v39
	v_sub_f16_e32 v42, v23, v38
	v_add_f16_e32 v44, v23, v40
	v_sub_f16_e32 v23, v38, v23
	v_sub_f16_e32 v45, v39, v40
	v_sub_f16_e32 v15, v38, v39
	v_sub_f16_e32 v22, v11, v12
	v_sub_f16_e32 v32, v25, v26
	v_sub_f16_e32 v12, v12, v26
	v_sub_f16_e32 v41, v11, v25
	v_sub_f16_e32 v43, v40, v39
	v_add_f16_e32 v4, v4, v11
	v_fma_f16 v10, -0.5, v5, v9
	v_add_f16_e32 v11, v8, v18
	v_fmac_f16_e32 v9, -0.5, v21
	v_add_f16_e32 v21, v34, v38
	v_fma_f16 v18, -0.5, v36, v17
	v_fmac_f16_e32 v17, -0.5, v44
	v_add_f16_e32 v36, v23, v45
	v_add_f16_e32 v23, v6, v7
	;; [unrolled: 1-line block ×8, first 2 shown]
	v_sub_f16_e32 v42, v27, v37
	v_sub_f16_e32 v43, v28, v35
	v_sub_f16_e32 v44, v7, v29
	v_sub_f16_e32 v45, v31, v30
	v_sub_f16_e32 v47, v29, v7
	v_add_f16_e32 v49, v16, v27
	v_sub_f16_e32 v51, v7, v31
	v_sub_f16_e32 v52, v29, v30
	v_sub_f16_e32 v53, v27, v28
	v_sub_f16_e32 v27, v28, v27
	v_sub_f16_e32 v56, v35, v37
	v_add_f16_e32 v4, v4, v25
	v_fmamk_f16 v5, v13, 0x3b9c, v10
	v_fmamk_f16 v8, v15, 0xbb9c, v9
	v_fmac_f16_e32 v9, 0x3b9c, v15
	v_add_f16_e32 v25, v21, v39
	v_fmamk_f16 v21, v12, 0xbb9c, v18
	v_fmamk_f16 v22, v41, 0x3b9c, v17
	v_fmac_f16_e32 v17, 0xbb9c, v41
	v_add_f16_e32 v29, v23, v29
	v_fma_f16 v7, -0.5, v38, v6
	v_fmac_f16_e32 v6, -0.5, v46
	v_fma_f16 v23, -0.5, v50, v16
	v_fmac_f16_e32 v16, -0.5, v55
	v_fmac_f16_e32 v10, 0xbb9c, v13
	v_fmac_f16_e32 v18, 0x3b9c, v12
	v_sub_f16_e32 v48, v30, v31
	v_sub_f16_e32 v54, v37, v35
	v_add_f16_e32 v38, v44, v45
	v_add_f16_e32 v28, v49, v28
	;; [unrolled: 1-line block ×4, first 2 shown]
	v_fmac_f16_e32 v5, 0x38b4, v15
	v_fmac_f16_e32 v8, 0x38b4, v13
	;; [unrolled: 1-line block ×6, first 2 shown]
	v_fmamk_f16 v12, v42, 0x3b9c, v7
	v_fmac_f16_e32 v7, 0xbb9c, v42
	v_fmamk_f16 v13, v43, 0xbb9c, v6
	v_fmac_f16_e32 v6, 0x3b9c, v43
	;; [unrolled: 2-line block ×4, first 2 shown]
	v_fmac_f16_e32 v10, 0xb8b4, v15
	v_fmac_f16_e32 v18, 0x38b4, v41
	v_add_f16_e32 v39, v47, v48
	v_add_f16_e32 v44, v53, v54
	v_add_f16_e32 v15, v25, v40
	v_add_f16_e32 v25, v29, v30
	v_add_f16_e32 v28, v28, v35
	v_fmac_f16_e32 v5, 0x34f2, v11
	v_fmac_f16_e32 v21, 0x34f2, v34
	v_fmac_f16_e32 v12, 0x38b4, v43
	v_fmac_f16_e32 v7, 0xb8b4, v43
	v_fmac_f16_e32 v13, 0x38b4, v42
	v_fmac_f16_e32 v6, 0xb8b4, v42
	v_fmac_f16_e32 v26, 0xb8b4, v52
	v_fmac_f16_e32 v23, 0x38b4, v52
	v_fmac_f16_e32 v27, 0xb8b4, v51
	v_fmac_f16_e32 v16, 0x38b4, v51
	v_fmac_f16_e32 v8, 0x34f2, v32
	v_fmac_f16_e32 v9, 0x34f2, v32
	v_fmac_f16_e32 v22, 0x34f2, v36
	v_fmac_f16_e32 v17, 0x34f2, v36
	v_fmac_f16_e32 v10, 0x34f2, v11
	v_fmac_f16_e32 v18, 0x34f2, v34
	v_add_f16_e32 v11, v25, v31
	v_add_f16_e32 v28, v28, v37
	v_pack_b32_f16 v25, v4, v15
	v_fmac_f16_e32 v12, 0x34f2, v38
	v_fmac_f16_e32 v7, 0x34f2, v38
	;; [unrolled: 1-line block ×7, first 2 shown]
	v_pack_b32_f16 v29, v5, v21
	v_fmac_f16_e32 v16, 0x34f2, v45
	v_pack_b32_f16 v30, v8, v22
	v_pack_b32_f16 v31, v9, v17
	v_pack_b32_f16 v32, v10, v18
	ds_store_2addr_b32 v33, v25, v29 offset1:3
	ds_store_2addr_b32 v33, v30, v31 offset0:6 offset1:9
	ds_store_b32 v33, v32 offset:48
	s_and_saveexec_b32 s1, s0
	s_cbranch_execz .LBB0_15
; %bb.14:
	v_mul_lo_u16 v20, v20, 15
	v_lshlrev_b32_e32 v24, 2, v24
	v_perm_b32 v25, v28, v11, 0x5040100
	v_perm_b32 v29, v26, v12, 0x5040100
	;; [unrolled: 1-line block ×3, first 2 shown]
	v_and_b32_e32 v20, 0xffff, v20
	v_perm_b32 v31, v23, v7, 0x5040100
	s_delay_alu instid0(VALU_DEP_2) | instskip(NEXT) | instid1(VALU_DEP_1)
	v_lshlrev_b32_e32 v20, 2, v20
	v_add3_u32 v20, 0, v24, v20
	v_perm_b32 v24, v16, v6, 0x5040100
	ds_store_2addr_b32 v20, v25, v29 offset1:3
	ds_store_2addr_b32 v20, v30, v24 offset0:6 offset1:9
	ds_store_b32 v20, v31 offset:48
.LBB0_15:
	s_or_b32 exec_lo, exec_lo, s1
	v_cmp_gt_u32_e64 s0, 0x87, v3
	s_waitcnt lgkmcnt(0)
	s_barrier
	buffer_gl0_inv
                                        ; implicit-def: $vgpr32
                                        ; implicit-def: $vgpr31
	s_and_saveexec_b32 s1, s0
	s_cbranch_execz .LBB0_17
; %bb.16:
	v_add_nc_u32_e32 v6, 0x1000, v0
	v_add_nc_u32_e32 v8, 0x400, v0
	;; [unrolled: 1-line block ×4, first 2 shown]
	ds_load_2addr_b32 v[4:5], v0 offset1:135
	ds_load_b32 v31, v0 offset:5400
	ds_load_2addr_b32 v[6:7], v6 offset0:56 offset1:191
	ds_load_2addr_b32 v[8:9], v8 offset0:14 offset1:149
	ds_load_2addr_b32 v[10:11], v10 offset0:28 offset1:163
	ds_load_2addr_b32 v[12:13], v12 offset0:42 offset1:177
	s_waitcnt lgkmcnt(5)
	v_lshrrev_b32_e32 v15, 16, v4
	s_waitcnt lgkmcnt(4)
	v_lshrrev_b32_e32 v32, 16, v31
	v_lshrrev_b32_e32 v21, 16, v5
	s_waitcnt lgkmcnt(3)
	v_lshrrev_b32_e32 v16, 16, v6
	;; [unrolled: 3-line block ×5, first 2 shown]
	v_lshrrev_b32_e32 v27, 16, v13
.LBB0_17:
	s_or_b32 exec_lo, exec_lo, s1
	s_barrier
	buffer_gl0_inv
	s_and_saveexec_b32 s1, s0
	s_cbranch_execz .LBB0_19
; %bb.18:
	v_mul_lo_u16 v19, 0x89, v19
	s_delay_alu instid0(VALU_DEP_1) | instskip(NEXT) | instid1(VALU_DEP_1)
	v_lshrrev_b16 v19, 11, v19
	v_mul_lo_u16 v20, v19, 15
	v_and_b32_e32 v19, 0xffff, v19
	s_delay_alu instid0(VALU_DEP_2) | instskip(NEXT) | instid1(VALU_DEP_2)
	v_sub_nc_u16 v20, v3, v20
	v_mul_u32_u24_e32 v19, 0x294, v19
	s_delay_alu instid0(VALU_DEP_2) | instskip(NEXT) | instid1(VALU_DEP_1)
	v_and_b32_e32 v20, 0xff, v20
	v_mul_u32_u24_e32 v24, 10, v20
	v_lshlrev_b32_e32 v20, 2, v20
	s_delay_alu instid0(VALU_DEP_2) | instskip(NEXT) | instid1(VALU_DEP_2)
	v_lshlrev_b32_e32 v24, 2, v24
	v_add3_u32 v19, 0, v19, v20
	s_clause 0x2
	global_load_b128 v[34:37], v24, s[4:5] offset:48
	global_load_b128 v[38:41], v24, s[4:5] offset:64
	global_load_b64 v[42:43], v24, s[4:5] offset:80
	s_waitcnt vmcnt(2)
	v_lshrrev_b32_e32 v24, 16, v34
	v_lshrrev_b32_e32 v25, 16, v35
	;; [unrolled: 1-line block ×4, first 2 shown]
	s_waitcnt vmcnt(1)
	v_lshrrev_b32_e32 v33, 16, v38
	v_lshrrev_b32_e32 v44, 16, v39
	s_waitcnt vmcnt(0)
	v_lshrrev_b32_e32 v20, 16, v43
	v_lshrrev_b32_e32 v45, 16, v40
	;; [unrolled: 1-line block ×4, first 2 shown]
	v_mul_f16_e32 v48, v21, v24
	v_mul_f16_e32 v49, v32, v20
	;; [unrolled: 1-line block ×20, first 2 shown]
	v_fma_f16 v44, v5, v34, -v48
	v_fma_f16 v5, v31, v43, -v49
	v_fmac_f16_e32 v20, v32, v43
	v_fmac_f16_e32 v50, v21, v34
	v_fma_f16 v21, v8, v35, -v51
	v_fma_f16 v7, v7, v42, -v52
	v_fmac_f16_e32 v24, v23, v42
	v_fmac_f16_e32 v47, v22, v35
	v_fma_f16 v22, v9, v36, -v53
	v_fma_f16 v6, v6, v41, -v54
	;; [unrolled: 1-line block ×6, first 2 shown]
	v_fmac_f16_e32 v25, v16, v41
	v_fmac_f16_e32 v46, v17, v36
	;; [unrolled: 1-line block ×6, first 2 shown]
	v_sub_f16_e32 v12, v44, v5
	v_sub_f16_e32 v16, v21, v7
	;; [unrolled: 1-line block ×7, first 2 shown]
	v_add_f16_e32 v37, v4, v44
	v_add_f16_e32 v38, v15, v50
	;; [unrolled: 1-line block ×9, first 2 shown]
	v_mul_f16_e32 v48, 0xb482, v12
	v_mul_f16_e32 v49, 0x3853, v16
	;; [unrolled: 1-line block ×35, first 2 shown]
	v_add_f16_e32 v21, v37, v21
	v_add_f16_e32 v37, v38, v47
	v_fmamk_f16 v86, v13, 0xbbad, v48
	v_fmamk_f16 v87, v17, 0x3abb, v49
	v_fmamk_f16 v88, v23, 0xb93d, v50
	v_fmamk_f16 v89, v27, 0x36a6, v51
	v_fmamk_f16 v90, v31, 0xb08e, v52
	v_fma_f16 v91, v32, 0xbbad, -v53
	v_fma_f16 v92, v35, 0x3abb, -v54
	v_fmamk_f16 v93, v13, 0xb93d, v55
	v_fmamk_f16 v94, v17, 0xb08e, v56
	v_fmamk_f16 v95, v23, 0x3abb, v57
	v_fmamk_f16 v96, v27, 0xbbad, v58
	v_fmamk_f16 v97, v31, 0x36a6, v59
	v_fma_f16 v98, v32, 0xb93d, -v60
	v_fma_f16 v99, v35, 0xb08e, -v61
	v_fmamk_f16 v100, v13, 0xb08e, v62
	v_fmamk_f16 v101, v17, 0xbbad, v63
	v_fmamk_f16 v102, v23, 0x36a6, v64
	v_fmamk_f16 v103, v27, 0x3abb, v65
	v_fmamk_f16 v104, v31, 0xb93d, v66
	v_fma_f16 v105, v32, 0xb08e, -v67
	v_fma_f16 v106, v35, 0xbbad, -v68
	v_fmamk_f16 v107, v13, 0x36a6, v69
	v_fmamk_f16 v108, v17, 0xb93d, v70
	;; [unrolled: 1-line block ×3, first 2 shown]
	v_fma_f16 v110, v32, 0x36a6, -v74
	v_fma_f16 v111, v32, 0x3abb, -v34
	v_fmac_f16_e32 v53, 0xbbad, v32
	v_fmac_f16_e32 v60, 0xb93d, v32
	;; [unrolled: 1-line block ×5, first 2 shown]
	v_fmamk_f16 v32, v27, 0xb08e, v72
	v_fmamk_f16 v112, v31, 0x3abb, v73
	;; [unrolled: 1-line block ×3, first 2 shown]
	v_fma_f16 v48, v13, 0xbbad, -v48
	v_fma_f16 v55, v13, 0xb93d, -v55
	v_fma_f16 v62, v13, 0xb08e, -v62
	v_fma_f16 v69, v13, 0x36a6, -v69
	v_fma_f16 v12, v13, 0x3abb, -v12
	v_fmamk_f16 v13, v17, 0x36a6, v16
	v_fma_f16 v49, v17, 0x3abb, -v49
	v_fma_f16 v56, v17, 0xb08e, -v56
	v_fma_f16 v63, v17, 0xbbad, -v63
	v_fma_f16 v70, v17, 0xb93d, -v70
	v_fma_f16 v16, v17, 0x36a6, -v16
	v_fmamk_f16 v17, v23, 0xb08e, v18
	;; [unrolled: 6-line block ×4, first 2 shown]
	v_fma_f16 v52, v31, 0xb08e, -v52
	v_fma_f16 v59, v31, 0x36a6, -v59
	;; [unrolled: 1-line block ×6, first 2 shown]
	v_fmac_f16_e32 v54, 0x3abb, v35
	v_fmac_f16_e32 v61, 0xb08e, v35
	;; [unrolled: 1-line block ×4, first 2 shown]
	v_fma_f16 v114, v35, 0x36a6, -v36
	v_fmac_f16_e32 v36, 0x36a6, v35
	v_add_f16_e32 v35, v37, v46
	v_add_f16_e32 v21, v21, v22
	v_sub_f16_e32 v39, v46, v25
	v_sub_f16_e32 v41, v45, v29
	;; [unrolled: 1-line block ×3, first 2 shown]
	v_add_f16_e32 v42, v10, v8
	v_add_f16_e32 v10, v21, v10
	;; [unrolled: 1-line block ×5, first 2 shown]
	v_mul_f16_e32 v38, 0xba0c, v39
	v_mul_f16_e32 v47, 0xb853, v39
	;; [unrolled: 1-line block ×15, first 2 shown]
	v_add_f16_e32 v10, v10, v11
	v_add_f16_e32 v11, v21, v33
	v_fma_f16 v22, v40, 0xb93d, -v38
	v_fmac_f16_e32 v38, 0xb93d, v40
	v_fma_f16 v37, v40, 0x3abb, -v47
	v_fmac_f16_e32 v47, 0x3abb, v40
	;; [unrolled: 2-line block ×15, first 2 shown]
	v_add_f16_e32 v44, v4, v91
	v_add_f16_e32 v91, v4, v98
	;; [unrolled: 1-line block ×110, first 2 shown]
	v_pack_b32_f16 v8, v17, v13
	v_pack_b32_f16 v13, v31, v32
	;; [unrolled: 1-line block ×11, first 2 shown]
	ds_store_2addr_b32 v19, v13, v17 offset0:30 offset1:45
	ds_store_2addr_b32 v19, v18, v15 offset0:60 offset1:75
	;; [unrolled: 1-line block ×4, first 2 shown]
	ds_store_2addr_b32 v19, v5, v8 offset1:15
	ds_store_b32 v19, v4 offset:600
.LBB0_19:
	s_or_b32 exec_lo, exec_lo, s1
	v_dual_mov_b32 v5, 0 :: v_dual_lshlrev_b32 v4, 1, v3
	v_add_nc_u32_e32 v8, 0x14a, v3
	s_waitcnt lgkmcnt(0)
	s_barrier
	buffer_gl0_inv
	v_lshlrev_b64 v[6:7], 2, v[4:5]
	v_and_b32_e32 v4, 0xffff, v8
	v_lshl_add_u32 v11, v3, 2, 0
	v_add_nc_u32_e32 v12, 0xc00, v0
	v_add_nc_u32_e32 v10, 0x1200, v0
	;; [unrolled: 1-line block ×3, first 2 shown]
	v_mul_u32_u24_e32 v4, 0x8d31, v4
	v_add_co_u32 v6, s0, s4, v6
	s_delay_alu instid0(VALU_DEP_1) | instskip(NEXT) | instid1(VALU_DEP_3)
	v_add_co_ci_u32_e64 v7, s0, s5, v7, s0
	v_lshrrev_b32_e32 v4, 16, v4
	v_add_nc_u32_e32 v11, 0x200, v11
	v_add_nc_u32_e32 v28, 0xa00, v0
	global_load_b64 v[15:16], v[6:7], off offset:648
	v_sub_nc_u16 v9, v8, v4
	s_delay_alu instid0(VALU_DEP_1) | instskip(NEXT) | instid1(VALU_DEP_1)
	v_lshrrev_b16 v9, 1, v9
	v_add_nc_u16 v4, v9, v4
	s_delay_alu instid0(VALU_DEP_1) | instskip(NEXT) | instid1(VALU_DEP_1)
	v_lshrrev_b16 v4, 7, v4
	v_mul_lo_u16 v4, 0xa5, v4
	s_delay_alu instid0(VALU_DEP_1) | instskip(NEXT) | instid1(VALU_DEP_1)
	v_sub_nc_u16 v4, v8, v4
	v_and_b32_e32 v4, 0xffff, v4
	s_delay_alu instid0(VALU_DEP_1)
	v_lshlrev_b32_e32 v9, 3, v4
	v_lshl_add_u32 v4, v4, 2, 0
	global_load_b64 v[17:18], v9, s[4:5] offset:648
	v_add_nc_u32_e32 v9, 0x700, v0
	ds_load_b32 v13, v0
	ds_load_2addr_b32 v[19:20], v9 offset0:47 offset1:212
	ds_load_2addr_b32 v[21:22], v10 offset0:3 offset1:168
	;; [unrolled: 1-line block ×4, first 2 shown]
	v_add_nc_u32_e32 v40, 0xf00, v4
	s_waitcnt vmcnt(0) lgkmcnt(0)
	s_barrier
	buffer_gl0_inv
	v_lshrrev_b32_e32 v29, 16, v13
	v_lshrrev_b32_e32 v31, 16, v19
	;; [unrolled: 1-line block ×11, first 2 shown]
	s_delay_alu instid0(VALU_DEP_2) | instskip(SKIP_1) | instid1(VALU_DEP_3)
	v_mul_f16_e32 v41, v38, v31
	v_mul_f16_e32 v42, v38, v19
	;; [unrolled: 1-line block ×8, first 2 shown]
	v_fma_f16 v19, v15, v19, -v41
	v_fmac_f16_e32 v42, v15, v31
	v_fma_f16 v24, v16, v24, -v43
	v_fmac_f16_e32 v44, v16, v32
	;; [unrolled: 2-line block ×3, first 2 shown]
	v_fmac_f16_e32 v39, v16, v34
	v_fma_f16 v15, v16, v21, -v46
	v_add_f16_e32 v16, v13, v19
	v_add_f16_e32 v21, v19, v24
	v_sub_f16_e32 v31, v42, v44
	v_add_f16_e32 v32, v29, v42
	v_add_f16_e32 v33, v42, v44
	v_add_f16_e32 v34, v25, v20
	v_sub_f16_e32 v42, v38, v39
	v_add_f16_e32 v43, v36, v38
	;; [unrolled: 4-line block ×3, first 2 shown]
	v_fmac_f16_e32 v13, -0.5, v21
	v_add_f16_e32 v21, v32, v44
	v_fmac_f16_e32 v29, -0.5, v33
	v_add_f16_e32 v15, v34, v15
	v_fmac_f16_e32 v36, -0.5, v38
	v_sub_f16_e32 v19, v19, v24
	v_pack_b32_f16 v16, v16, v21
	v_fma_f16 v24, -0.5, v41, v25
	v_add_f16_e32 v25, v43, v39
	v_lshrrev_b32_e32 v33, 16, v17
	v_lshrrev_b32_e32 v34, 16, v18
	v_fmamk_f16 v38, v20, 0xbaee, v36
	v_fmac_f16_e32 v36, 0x3aee, v20
	v_fmamk_f16 v32, v31, 0x3aee, v13
	v_mul_f16_e32 v20, v33, v35
	v_mul_f16_e32 v21, v30, v34
	;; [unrolled: 1-line block ×4, first 2 shown]
	v_fmac_f16_e32 v13, 0xbaee, v31
	v_fma_f16 v20, v17, v23, -v20
	v_fma_f16 v21, v22, v18, -v21
	v_fmac_f16_e32 v33, v17, v35
	v_fmac_f16_e32 v34, v30, v18
	v_fmamk_f16 v31, v19, 0xbaee, v29
	v_fmac_f16_e32 v29, 0x3aee, v19
	v_add_f16_e32 v18, v20, v21
	v_pack_b32_f16 v15, v15, v25
	v_add_f16_e32 v23, v33, v34
	v_add_f16_e32 v22, v26, v20
	v_pack_b32_f16 v13, v13, v29
	v_sub_f16_e32 v25, v33, v34
	v_add_f16_e32 v29, v37, v33
	v_fmac_f16_e32 v26, -0.5, v18
	v_sub_f16_e32 v18, v20, v21
	v_fmac_f16_e32 v37, -0.5, v23
	v_fmamk_f16 v19, v42, 0x3aee, v24
	v_fmac_f16_e32 v24, 0xbaee, v42
	v_add_f16_e32 v20, v22, v21
	v_add_f16_e32 v21, v29, v34
	v_fmamk_f16 v22, v25, 0x3aee, v26
	v_fmamk_f16 v23, v18, 0xbaee, v37
	v_fmac_f16_e32 v26, 0xbaee, v25
	v_fmac_f16_e32 v37, 0x3aee, v18
	v_pack_b32_f16 v17, v32, v31
	v_pack_b32_f16 v18, v19, v38
	;; [unrolled: 1-line block ×6, first 2 shown]
	ds_store_2addr_b32 v0, v16, v17 offset1:165
	ds_store_2addr_b32 v27, v13, v15 offset0:74 offset1:239
	ds_store_2addr_b32 v28, v18, v19 offset0:20 offset1:185
	;; [unrolled: 1-line block ×3, first 2 shown]
	ds_store_b32 v4, v22 offset:5280
	s_waitcnt lgkmcnt(0)
	s_barrier
	buffer_gl0_inv
	s_and_saveexec_b32 s0, vcc_lo
	s_cbranch_execz .LBB0_21
; %bb.20:
	v_lshlrev_b32_e32 v4, 1, v8
	v_mul_hi_u32 v23, 0x21195767, v8
	s_delay_alu instid0(VALU_DEP_2) | instskip(SKIP_2) | instid1(VALU_DEP_2)
	v_lshlrev_b64 v[15:16], 2, v[4:5]
	v_lshlrev_b32_e32 v4, 1, v14
	v_mul_hi_u32 v14, 0x21195767, v14
	v_lshlrev_b64 v[17:18], 2, v[4:5]
	s_delay_alu instid0(VALU_DEP_4) | instskip(SKIP_2) | instid1(VALU_DEP_4)
	v_add_co_u32 v15, vcc_lo, s4, v15
	v_add_co_ci_u32_e32 v16, vcc_lo, s5, v16, vcc_lo
	v_mov_b32_e32 v4, v5
	v_add_co_u32 v17, vcc_lo, s4, v17
	global_load_b64 v[15:16], v[15:16], off offset:1968
	v_add_co_ci_u32_e32 v18, vcc_lo, s5, v18, vcc_lo
	v_add_co_u32 v1, vcc_lo, s8, v1
	s_clause 0x1
	global_load_b64 v[17:18], v[17:18], off offset:1968
	global_load_b64 v[6:7], v[6:7], off offset:1968
	ds_load_2addr_b32 v[12:13], v12 offset0:57 offset1:222
	ds_load_2addr_b32 v[19:20], v10 offset0:3 offset1:168
	;; [unrolled: 1-line block ×4, first 2 shown]
	ds_load_b32 v25, v0
	v_lshrrev_b32_e32 v0, 6, v14
	v_lshlrev_b64 v[8:9], 2, v[3:4]
	v_add_co_ci_u32_e32 v2, vcc_lo, s9, v2, vcc_lo
	v_lshrrev_b32_e32 v14, 6, v23
	s_delay_alu instid0(VALU_DEP_4) | instskip(NEXT) | instid1(VALU_DEP_4)
	v_mul_u32_u24_e32 v4, 0x3de, v0
	v_add_co_u32 v0, vcc_lo, v1, v8
	s_delay_alu instid0(VALU_DEP_4) | instskip(NEXT) | instid1(VALU_DEP_3)
	v_add_co_ci_u32_e32 v1, vcc_lo, v2, v9, vcc_lo
	v_lshlrev_b64 v[2:3], 2, v[4:5]
	v_mul_u32_u24_e32 v4, 0x3de, v14
	s_waitcnt lgkmcnt(4)
	v_lshrrev_b32_e32 v14, 16, v12
	s_waitcnt lgkmcnt(3)
	v_lshrrev_b32_e32 v26, 16, v20
	;; [unrolled: 2-line block ×3, first 2 shown]
	v_lshrrev_b32_e32 v29, 16, v19
	v_lshrrev_b32_e32 v31, 16, v21
	;; [unrolled: 1-line block ×5, first 2 shown]
	s_waitcnt lgkmcnt(0)
	v_lshrrev_b32_e32 v33, 16, v25
	v_add_co_u32 v2, vcc_lo, v0, v2
	v_add_co_ci_u32_e32 v3, vcc_lo, v1, v3, vcc_lo
	v_lshlrev_b64 v[4:5], 2, v[4:5]
	s_delay_alu instid0(VALU_DEP_3) | instskip(NEXT) | instid1(VALU_DEP_3)
	v_add_co_u32 v8, vcc_lo, 0x294, v2
	v_add_co_ci_u32_e32 v9, vcc_lo, 0, v3, vcc_lo
	s_delay_alu instid0(VALU_DEP_3) | instskip(NEXT) | instid1(VALU_DEP_4)
	v_add_co_u32 v4, vcc_lo, v0, v4
	v_add_co_ci_u32_e32 v5, vcc_lo, v1, v5, vcc_lo
	s_delay_alu instid0(VALU_DEP_2) | instskip(NEXT) | instid1(VALU_DEP_2)
	v_add_co_u32 v23, vcc_lo, 0x528, v4
	v_add_co_ci_u32_e32 v24, vcc_lo, 0, v5, vcc_lo
	s_waitcnt vmcnt(2)
	v_lshrrev_b32_e32 v34, 16, v15
	v_lshrrev_b32_e32 v35, 16, v16
	v_mul_f16_e32 v36, v15, v14
	v_mul_f16_e32 v37, v16, v26
	s_delay_alu instid0(VALU_DEP_4) | instskip(NEXT) | instid1(VALU_DEP_4)
	v_mul_f16_e32 v14, v34, v14
	v_mul_f16_e32 v26, v35, v26
	s_delay_alu instid0(VALU_DEP_4) | instskip(NEXT) | instid1(VALU_DEP_4)
	v_fmac_f16_e32 v36, v34, v12
	v_fmac_f16_e32 v37, v20, v35
	s_waitcnt vmcnt(1)
	v_lshrrev_b32_e32 v34, 16, v17
	v_lshrrev_b32_e32 v35, 16, v18
	v_mul_f16_e32 v38, v17, v28
	v_mul_f16_e32 v39, v18, v29
	s_waitcnt vmcnt(0)
	v_lshrrev_b32_e32 v40, 16, v6
	v_lshrrev_b32_e32 v41, 16, v7
	v_mul_f16_e32 v42, v6, v31
	v_mul_f16_e32 v43, v7, v32
	v_fma_f16 v12, v15, v12, -v14
	v_fma_f16 v14, v16, v20, -v26
	v_add_f16_e32 v15, v36, v37
	v_mul_f16_e32 v26, v34, v28
	v_mul_f16_e32 v28, v35, v29
	v_fmac_f16_e32 v38, v34, v22
	v_fmac_f16_e32 v39, v35, v19
	v_mul_f16_e32 v29, v40, v31
	v_mul_f16_e32 v31, v41, v32
	v_add_f16_e32 v16, v36, v27
	v_fmac_f16_e32 v42, v40, v21
	v_fmac_f16_e32 v43, v41, v13
	v_sub_f16_e32 v32, v12, v14
	v_fma_f16 v15, -0.5, v15, v27
	v_add_f16_e32 v27, v12, v14
	v_add_f16_e32 v12, v12, v11
	v_fma_f16 v17, v17, v22, -v26
	v_fma_f16 v18, v18, v19, -v28
	v_add_f16_e32 v19, v38, v39
	v_fma_f16 v6, v6, v21, -v29
	v_fma_f16 v7, v7, v13, -v31
	v_sub_f16_e32 v20, v36, v37
	v_add_f16_e32 v13, v42, v43
	v_fma_f16 v11, -0.5, v27, v11
	v_add_f16_e32 v12, v14, v12
	v_sub_f16_e32 v14, v17, v18
	v_fma_f16 v19, -0.5, v19, v30
	v_add_f16_e32 v27, v17, v18
	v_add_f16_e32 v17, v17, v10
	;; [unrolled: 1-line block ×5, first 2 shown]
	v_sub_f16_e32 v30, v6, v7
	v_add_f16_e32 v6, v6, v25
	v_add_f16_e32 v16, v37, v16
	v_sub_f16_e32 v21, v42, v43
	v_fmamk_f16 v29, v32, 0x3aee, v15
	v_fmac_f16_e32 v15, 0xbaee, v32
	v_fma_f16 v13, -0.5, v13, v33
	v_fmamk_f16 v32, v20, 0xbaee, v11
	v_fmac_f16_e32 v11, 0x3aee, v20
	v_fmamk_f16 v20, v14, 0x3aee, v19
	v_fmac_f16_e32 v19, 0xbaee, v14
	v_add_f16_e32 v14, v17, v18
	v_fma_f16 v18, -0.5, v31, v25
	v_sub_f16_e32 v22, v38, v39
	v_fma_f16 v10, -0.5, v27, v10
	v_add_f16_e32 v28, v28, v43
	v_add_f16_e32 v6, v6, v7
	v_fmamk_f16 v17, v30, 0x3aee, v13
	v_fmac_f16_e32 v13, 0xbaee, v30
	v_pack_b32_f16 v7, v12, v16
	v_fmamk_f16 v16, v21, 0xbaee, v18
	v_fmac_f16_e32 v18, 0x3aee, v21
	v_add_f16_e32 v26, v26, v39
	v_fmamk_f16 v12, v22, 0xbaee, v10
	v_fmac_f16_e32 v10, 0x3aee, v22
	v_pack_b32_f16 v6, v6, v28
	v_pack_b32_f16 v13, v18, v13
	;; [unrolled: 1-line block ×8, first 2 shown]
	s_clause 0x8
	global_store_b32 v[0:1], v6, off
	global_store_b32 v[0:1], v13, off offset:1980
	global_store_b32 v[0:1], v16, off offset:3960
	;; [unrolled: 1-line block ×8, first 2 shown]
.LBB0_21:
	s_nop 0
	s_sendmsg sendmsg(MSG_DEALLOC_VGPRS)
	s_endpgm
	.section	.rodata,"a",@progbits
	.p2align	6, 0x0
	.amdhsa_kernel fft_rtc_fwd_len1485_factors_3_5_11_3_3_wgs_165_tpt_165_half_ip_CI_unitstride_sbrr_dirReg
		.amdhsa_group_segment_fixed_size 0
		.amdhsa_private_segment_fixed_size 0
		.amdhsa_kernarg_size 88
		.amdhsa_user_sgpr_count 15
		.amdhsa_user_sgpr_dispatch_ptr 0
		.amdhsa_user_sgpr_queue_ptr 0
		.amdhsa_user_sgpr_kernarg_segment_ptr 1
		.amdhsa_user_sgpr_dispatch_id 0
		.amdhsa_user_sgpr_private_segment_size 0
		.amdhsa_wavefront_size32 1
		.amdhsa_uses_dynamic_stack 0
		.amdhsa_enable_private_segment 0
		.amdhsa_system_sgpr_workgroup_id_x 1
		.amdhsa_system_sgpr_workgroup_id_y 0
		.amdhsa_system_sgpr_workgroup_id_z 0
		.amdhsa_system_sgpr_workgroup_info 0
		.amdhsa_system_vgpr_workitem_id 0
		.amdhsa_next_free_vgpr 125
		.amdhsa_next_free_sgpr 21
		.amdhsa_reserve_vcc 1
		.amdhsa_float_round_mode_32 0
		.amdhsa_float_round_mode_16_64 0
		.amdhsa_float_denorm_mode_32 3
		.amdhsa_float_denorm_mode_16_64 3
		.amdhsa_dx10_clamp 1
		.amdhsa_ieee_mode 1
		.amdhsa_fp16_overflow 0
		.amdhsa_workgroup_processor_mode 1
		.amdhsa_memory_ordered 1
		.amdhsa_forward_progress 0
		.amdhsa_shared_vgpr_count 0
		.amdhsa_exception_fp_ieee_invalid_op 0
		.amdhsa_exception_fp_denorm_src 0
		.amdhsa_exception_fp_ieee_div_zero 0
		.amdhsa_exception_fp_ieee_overflow 0
		.amdhsa_exception_fp_ieee_underflow 0
		.amdhsa_exception_fp_ieee_inexact 0
		.amdhsa_exception_int_div_zero 0
	.end_amdhsa_kernel
	.text
.Lfunc_end0:
	.size	fft_rtc_fwd_len1485_factors_3_5_11_3_3_wgs_165_tpt_165_half_ip_CI_unitstride_sbrr_dirReg, .Lfunc_end0-fft_rtc_fwd_len1485_factors_3_5_11_3_3_wgs_165_tpt_165_half_ip_CI_unitstride_sbrr_dirReg
                                        ; -- End function
	.section	.AMDGPU.csdata,"",@progbits
; Kernel info:
; codeLenInByte = 7764
; NumSgprs: 23
; NumVgprs: 125
; ScratchSize: 0
; MemoryBound: 0
; FloatMode: 240
; IeeeMode: 1
; LDSByteSize: 0 bytes/workgroup (compile time only)
; SGPRBlocks: 2
; VGPRBlocks: 15
; NumSGPRsForWavesPerEU: 23
; NumVGPRsForWavesPerEU: 125
; Occupancy: 10
; WaveLimiterHint : 1
; COMPUTE_PGM_RSRC2:SCRATCH_EN: 0
; COMPUTE_PGM_RSRC2:USER_SGPR: 15
; COMPUTE_PGM_RSRC2:TRAP_HANDLER: 0
; COMPUTE_PGM_RSRC2:TGID_X_EN: 1
; COMPUTE_PGM_RSRC2:TGID_Y_EN: 0
; COMPUTE_PGM_RSRC2:TGID_Z_EN: 0
; COMPUTE_PGM_RSRC2:TIDIG_COMP_CNT: 0
	.text
	.p2alignl 7, 3214868480
	.fill 96, 4, 3214868480
	.type	__hip_cuid_97ef4833657e4f18,@object ; @__hip_cuid_97ef4833657e4f18
	.section	.bss,"aw",@nobits
	.globl	__hip_cuid_97ef4833657e4f18
__hip_cuid_97ef4833657e4f18:
	.byte	0                               ; 0x0
	.size	__hip_cuid_97ef4833657e4f18, 1

	.ident	"AMD clang version 19.0.0git (https://github.com/RadeonOpenCompute/llvm-project roc-6.4.0 25133 c7fe45cf4b819c5991fe208aaa96edf142730f1d)"
	.section	".note.GNU-stack","",@progbits
	.addrsig
	.addrsig_sym __hip_cuid_97ef4833657e4f18
	.amdgpu_metadata
---
amdhsa.kernels:
  - .args:
      - .actual_access:  read_only
        .address_space:  global
        .offset:         0
        .size:           8
        .value_kind:     global_buffer
      - .offset:         8
        .size:           8
        .value_kind:     by_value
      - .actual_access:  read_only
        .address_space:  global
        .offset:         16
        .size:           8
        .value_kind:     global_buffer
      - .actual_access:  read_only
        .address_space:  global
        .offset:         24
        .size:           8
        .value_kind:     global_buffer
      - .offset:         32
        .size:           8
        .value_kind:     by_value
      - .actual_access:  read_only
        .address_space:  global
        .offset:         40
        .size:           8
        .value_kind:     global_buffer
      - .actual_access:  read_only
        .address_space:  global
        .offset:         48
        .size:           8
        .value_kind:     global_buffer
      - .offset:         56
        .size:           4
        .value_kind:     by_value
      - .actual_access:  read_only
        .address_space:  global
        .offset:         64
        .size:           8
        .value_kind:     global_buffer
      - .actual_access:  read_only
        .address_space:  global
        .offset:         72
        .size:           8
        .value_kind:     global_buffer
      - .address_space:  global
        .offset:         80
        .size:           8
        .value_kind:     global_buffer
    .group_segment_fixed_size: 0
    .kernarg_segment_align: 8
    .kernarg_segment_size: 88
    .language:       OpenCL C
    .language_version:
      - 2
      - 0
    .max_flat_workgroup_size: 165
    .name:           fft_rtc_fwd_len1485_factors_3_5_11_3_3_wgs_165_tpt_165_half_ip_CI_unitstride_sbrr_dirReg
    .private_segment_fixed_size: 0
    .sgpr_count:     23
    .sgpr_spill_count: 0
    .symbol:         fft_rtc_fwd_len1485_factors_3_5_11_3_3_wgs_165_tpt_165_half_ip_CI_unitstride_sbrr_dirReg.kd
    .uniform_work_group_size: 1
    .uses_dynamic_stack: false
    .vgpr_count:     125
    .vgpr_spill_count: 0
    .wavefront_size: 32
    .workgroup_processor_mode: 1
amdhsa.target:   amdgcn-amd-amdhsa--gfx1100
amdhsa.version:
  - 1
  - 2
...

	.end_amdgpu_metadata
